;; amdgpu-corpus repo=zjin-lcf/HeCBench kind=compiled arch=gfx1100 opt=O3
	.text
	.amdgcn_target "amdgcn-amd-amdhsa--gfx1100"
	.amdhsa_code_object_version 6
	.protected	_Z10ker_KeccakPKjPjS0_  ; -- Begin function _Z10ker_KeccakPKjPjS0_
	.globl	_Z10ker_KeccakPKjPjS0_
	.p2align	8
	.type	_Z10ker_KeccakPKjPjS0_,@function
_Z10ker_KeccakPKjPjS0_:                 ; @_Z10ker_KeccakPKjPjS0_
; %bb.0:
	s_clause 0x1
	s_load_b128 s[4:7], s[0:1], 0x0
	s_load_b64 s[0:1], s[0:1], 0x10
	v_lshl_or_b32 v3, s15, 19, v0
	v_dual_mov_b32 v2, 0 :: v_dual_mov_b32 v21, 0
	v_dual_mov_b32 v23, 0 :: v_dual_mov_b32 v24, 0
	v_dual_mov_b32 v26, 0 :: v_dual_mov_b32 v27, 0
	v_dual_mov_b32 v18, 0 :: v_dual_mov_b32 v19, 0
	v_dual_mov_b32 v22, 0 :: v_dual_mov_b32 v25, 0
	v_dual_mov_b32 v20, 0 :: v_dual_mov_b32 v13, 0
	v_dual_mov_b32 v14, 0 :: v_dual_mov_b32 v15, 0
	v_dual_mov_b32 v17, 0 :: v_dual_mov_b32 v16, 0
	v_dual_mov_b32 v9, 0 :: v_dual_mov_b32 v10, 0
	v_dual_mov_b32 v8, 0 :: v_dual_mov_b32 v11, 0
	v_dual_mov_b32 v12, 0 :: v_dual_mov_b32 v5, 0
	v_dual_mov_b32 v4, 0 :: v_dual_mov_b32 v7, 0
	v_mov_b32_e32 v6, 0
	v_mov_b32_e32 v28, 0
	s_mov_b32 s8, 0
.LBB0_1:                                ; =>This Loop Header: Depth=1
                                        ;     Child Loop BB0_2 Depth 2
	s_delay_alu instid0(SALU_CYCLE_1)
	v_lshl_add_u32 v1, s8, 9, v3
	v_mov_b32_e32 v30, v2
	v_mov_b32_e32 v32, v2
	;; [unrolled: 1-line block ×3, first 2 shown]
	s_mov_b64 s[2:3], 0
	v_add_nc_u32_e32 v35, 0xc0, v1
	v_add_nc_u32_e32 v29, 64, v1
	v_lshlrev_b64 v[33:34], 2, v[1:2]
	v_add_nc_u32_e32 v31, 0x80, v1
	v_dual_mov_b32 v38, v2 :: v_dual_add_nc_u32 v37, 0x100, v1
	s_delay_alu instid0(VALU_DEP_4) | instskip(SKIP_1) | instid1(VALU_DEP_4)
	v_lshlrev_b64 v[29:30], 2, v[29:30]
	v_lshlrev_b64 v[35:36], 2, v[35:36]
	;; [unrolled: 1-line block ×3, first 2 shown]
	s_waitcnt lgkmcnt(0)
	v_add_co_u32 v33, vcc_lo, s4, v33
	v_add_co_ci_u32_e32 v34, vcc_lo, s5, v34, vcc_lo
	v_add_co_u32 v29, vcc_lo, s4, v29
	v_dual_mov_b32 v40, v2 :: v_dual_add_nc_u32 v39, 0x140, v1
	v_add_co_ci_u32_e32 v30, vcc_lo, s5, v30, vcc_lo
	v_add_co_u32 v31, vcc_lo, s4, v31
	v_lshlrev_b64 v[37:38], 2, v[37:38]
	v_dual_mov_b32 v42, v2 :: v_dual_add_nc_u32 v41, 0x180, v1
	v_add_co_ci_u32_e32 v32, vcc_lo, s5, v32, vcc_lo
	v_add_co_u32 v35, vcc_lo, s4, v35
	v_lshlrev_b64 v[39:40], 2, v[39:40]
	v_add_nc_u32_e32 v1, 0x1c0, v1
	v_add_co_ci_u32_e32 v36, vcc_lo, s5, v36, vcc_lo
	v_add_co_u32 v37, vcc_lo, s4, v37
	v_lshlrev_b64 v[41:42], 2, v[41:42]
	v_add_co_ci_u32_e32 v38, vcc_lo, s5, v38, vcc_lo
	v_add_co_u32 v39, vcc_lo, s4, v39
	v_lshlrev_b64 v[43:44], 2, v[1:2]
	v_add_co_ci_u32_e32 v40, vcc_lo, s5, v40, vcc_lo
	v_add_co_u32 v41, vcc_lo, s4, v41
	v_add_co_ci_u32_e32 v42, vcc_lo, s5, v42, vcc_lo
	s_delay_alu instid0(VALU_DEP_4)
	v_add_co_u32 v43, vcc_lo, s4, v43
	v_add_co_ci_u32_e32 v44, vcc_lo, s5, v44, vcc_lo
	s_clause 0x7
	global_load_b32 v1, v[33:34], off
	global_load_b32 v29, v[29:30], off
	;; [unrolled: 1-line block ×8, first 2 shown]
	s_waitcnt vmcnt(7)
	v_xor_b32_e32 v28, v28, v1
	s_waitcnt vmcnt(6)
	v_xor_b32_e32 v7, v7, v29
	;; [unrolled: 2-line block ×8, first 2 shown]
.LBB0_2:                                ;   Parent Loop BB0_1 Depth=1
                                        ; =>  This Inner Loop Header: Depth=2
	s_delay_alu instid0(VALU_DEP_2) | instskip(SKIP_2) | instid1(VALU_DEP_4)
	v_xor3_b32 v1, v12, v7, v17
	v_xor3_b32 v30, v9, v4, v13
	;; [unrolled: 1-line block ×10, first 2 shown]
	v_alignbit_b32 v33, v1, v1, 31
	s_add_u32 s10, s0, s2
	v_alignbit_b32 v35, v32, v32, 31
	v_alignbit_b32 v34, v29, v29, 31
	s_addc_u32 s11, s1, s3
	v_xor_b32_e32 v33, v30, v33
	v_alignbit_b32 v30, v30, v30, 31
	v_xor_b32_e32 v1, v35, v1
	v_xor_b32_e32 v34, v34, v31
	s_load_b32 s9, s[10:11], 0x0
	v_xor_b32_e32 v28, v33, v28
	v_xor_b32_e32 v29, v30, v29
	v_alignbit_b32 v30, v31, v31, 31
	v_xor_b32_e32 v6, v1, v6
	v_xor_b32_e32 v8, v1, v8
	;; [unrolled: 1-line block ×16, first 2 shown]
	v_alignbit_b32 v30, v17, v17, 22
	v_alignbit_b32 v17, v5, v5, 4
	;; [unrolled: 1-line block ×7, first 2 shown]
	v_xor_b32_e32 v11, v33, v11
	v_xor_b32_e32 v16, v33, v16
	v_xor_b32_e32 v20, v33, v20
	v_xor_b32_e32 v27, v33, v27
	v_xor_b32_e32 v14, v29, v14
	v_xor_b32_e32 v23, v29, v23
	v_xor_b32_e32 v13, v13, v24
	v_xor_b32_e32 v18, v18, v24
	v_alignbit_b32 v24, v7, v7, 31
	v_alignbit_b32 v29, v8, v8, 26
	;; [unrolled: 1-line block ×5, first 2 shown]
	v_not_b32_e32 v6, v5
	v_not_b32_e32 v7, v4
	v_alignbit_b32 v9, v9, v9, 12
	v_not_b32_e32 v12, v10
	v_xor_b32_e32 v25, v34, v25
	v_alignbit_b32 v16, v16, v16, 29
	v_alignbit_b32 v19, v11, v11, 28
	;; [unrolled: 1-line block ×3, first 2 shown]
	v_not_b32_e32 v11, v8
	v_and_b32_e32 v36, v4, v6
	v_and_b32_e32 v6, v8, v7
	v_not_b32_e32 v13, v28
	v_and_b32_e32 v12, v28, v12
	v_not_b32_e32 v15, v9
	v_alignbit_b32 v31, v22, v22, 17
	v_alignbit_b32 v22, v25, v25, 19
	;; [unrolled: 1-line block ×3, first 2 shown]
	v_and_b32_e32 v11, v10, v11
	v_xor_b32_e32 v7, v6, v5
	v_and_b32_e32 v13, v5, v13
	v_xor_b32_e32 v5, v8, v12
	v_and_b32_e32 v8, v16, v15
	v_not_b32_e32 v12, v16
	v_xor_b32_e32 v6, v11, v4
	v_xor_b32_e32 v4, v13, v10
	v_not_b32_e32 v10, v22
	v_not_b32_e32 v13, v1
	v_xor_b32_e32 v11, v17, v8
	v_and_b32_e32 v8, v22, v12
	v_not_b32_e32 v15, v17
	v_alignbit_b32 v34, v20, v20, 23
	v_alignbit_b32 v18, v18, v18, 24
	;; [unrolled: 1-line block ×4, first 2 shown]
	v_and_b32_e32 v10, v1, v10
	v_and_b32_e32 v13, v17, v13
	v_not_b32_e32 v17, v29
	v_xor_b32_e32 v12, v8, v9
	v_and_b32_e32 v9, v9, v15
	v_xor_b32_e32 v8, v16, v10
	v_xor_b32_e32 v10, v13, v22
	v_and_b32_e32 v13, v14, v17
	v_not_b32_e32 v15, v14
	v_xor_b32_e32 v9, v9, v1
	v_not_b32_e32 v1, v18
	v_not_b32_e32 v17, v20
	v_xor_b32_e32 v16, v13, v24
	v_and_b32_e32 v13, v18, v15
	v_not_b32_e32 v15, v24
	v_and_b32_e32 v1, v20, v1
	v_and_b32_e32 v22, v24, v17
	v_not_b32_e32 v24, v19
	v_alignbit_b32 v23, v23, v23, 8
	v_xor_b32_e32 v17, v13, v29
	v_and_b32_e32 v13, v29, v15
	v_xor_b32_e32 v15, v14, v1
	v_xor_b32_e32 v14, v22, v18
	v_and_b32_e32 v1, v30, v24
	v_not_b32_e32 v18, v30
	v_xor_b32_e32 v13, v20, v13
	v_not_b32_e32 v24, v23
	v_not_b32_e32 v22, v31
	v_xor_b32_e32 v20, v1, v21
	v_and_b32_e32 v1, v31, v18
	v_not_b32_e32 v18, v21
	v_and_b32_e32 v21, v21, v24
	v_and_b32_e32 v22, v23, v22
	v_not_b32_e32 v24, v33
	v_xor_b32_e32 v25, v19, v1
	v_and_b32_e32 v18, v19, v18
	v_xor_b32_e32 v19, v21, v31
	v_not_b32_e32 v1, v32
	v_not_b32_e32 v21, v35
	v_not_b32_e32 v27, v26
	v_xor_b32_e32 v18, v23, v18
	v_not_b32_e32 v23, v34
	v_xor_b32_e32 v22, v22, v30
	v_and_b32_e32 v1, v35, v1
	v_and_b32_e32 v21, v34, v21
	;; [unrolled: 1-line block ×5, first 2 shown]
	v_xor_b32_e32 v27, v1, v26
	v_xor_b32_e32 v26, v32, v21
	s_waitcnt lgkmcnt(0)
	v_xor3_b32 v28, v36, s9, v28
	v_xor_b32_e32 v24, v23, v35
	v_xor_b32_e32 v23, v34, v29
	;; [unrolled: 1-line block ×3, first 2 shown]
	s_add_u32 s2, s2, 4
	s_addc_u32 s3, s3, 0
	s_cmpk_lg_i32 s2, 0x58
	s_cbranch_scc1 .LBB0_2
; %bb.3:                                ;   in Loop: Header=BB0_1 Depth=1
	s_add_i32 s8, s8, 1
	s_delay_alu instid0(SALU_CYCLE_1)
	s_cmpk_eq_i32 s8, 0x400
	s_cbranch_scc0 .LBB0_1
; %bb.4:
	s_lshl_b32 s0, s15, 9
	s_delay_alu instid0(SALU_CYCLE_1) | instskip(NEXT) | instid1(SALU_CYCLE_1)
	s_and_b32 s0, s0, 0x3ffffe00
	v_dual_mov_b32 v1, 0 :: v_dual_add_nc_u32 v0, s0, v0
	s_delay_alu instid0(VALU_DEP_1) | instskip(NEXT) | instid1(VALU_DEP_1)
	v_lshlrev_b64 v[0:1], 2, v[0:1]
	v_add_co_u32 v0, vcc_lo, s6, v0
	s_delay_alu instid0(VALU_DEP_2)
	v_add_co_ci_u32_e32 v1, vcc_lo, s7, v1, vcc_lo
	s_clause 0x7
	global_store_b32 v[0:1], v28, off
	global_store_b32 v[0:1], v7, off offset:256
	global_store_b32 v[0:1], v6, off offset:512
	;; [unrolled: 1-line block ×7, first 2 shown]
	s_nop 0
	s_sendmsg sendmsg(MSG_DEALLOC_VGPRS)
	s_endpgm
	.section	.rodata,"a",@progbits
	.p2align	6, 0x0
	.amdhsa_kernel _Z10ker_KeccakPKjPjS0_
		.amdhsa_group_segment_fixed_size 0
		.amdhsa_private_segment_fixed_size 0
		.amdhsa_kernarg_size 24
		.amdhsa_user_sgpr_count 15
		.amdhsa_user_sgpr_dispatch_ptr 0
		.amdhsa_user_sgpr_queue_ptr 0
		.amdhsa_user_sgpr_kernarg_segment_ptr 1
		.amdhsa_user_sgpr_dispatch_id 0
		.amdhsa_user_sgpr_private_segment_size 0
		.amdhsa_wavefront_size32 1
		.amdhsa_uses_dynamic_stack 0
		.amdhsa_enable_private_segment 0
		.amdhsa_system_sgpr_workgroup_id_x 1
		.amdhsa_system_sgpr_workgroup_id_y 0
		.amdhsa_system_sgpr_workgroup_id_z 0
		.amdhsa_system_sgpr_workgroup_info 0
		.amdhsa_system_vgpr_workitem_id 0
		.amdhsa_next_free_vgpr 45
		.amdhsa_next_free_sgpr 16
		.amdhsa_reserve_vcc 1
		.amdhsa_float_round_mode_32 0
		.amdhsa_float_round_mode_16_64 0
		.amdhsa_float_denorm_mode_32 3
		.amdhsa_float_denorm_mode_16_64 3
		.amdhsa_dx10_clamp 1
		.amdhsa_ieee_mode 1
		.amdhsa_fp16_overflow 0
		.amdhsa_workgroup_processor_mode 1
		.amdhsa_memory_ordered 1
		.amdhsa_forward_progress 0
		.amdhsa_shared_vgpr_count 0
		.amdhsa_exception_fp_ieee_invalid_op 0
		.amdhsa_exception_fp_denorm_src 0
		.amdhsa_exception_fp_ieee_div_zero 0
		.amdhsa_exception_fp_ieee_overflow 0
		.amdhsa_exception_fp_ieee_underflow 0
		.amdhsa_exception_fp_ieee_inexact 0
		.amdhsa_exception_int_div_zero 0
	.end_amdhsa_kernel
	.text
.Lfunc_end0:
	.size	_Z10ker_KeccakPKjPjS0_, .Lfunc_end0-_Z10ker_KeccakPKjPjS0_
                                        ; -- End function
	.section	.AMDGPU.csdata,"",@progbits
; Kernel info:
; codeLenInByte = 1456
; NumSgprs: 18
; NumVgprs: 45
; ScratchSize: 0
; MemoryBound: 0
; FloatMode: 240
; IeeeMode: 1
; LDSByteSize: 0 bytes/workgroup (compile time only)
; SGPRBlocks: 2
; VGPRBlocks: 5
; NumSGPRsForWavesPerEU: 18
; NumVGPRsForWavesPerEU: 45
; Occupancy: 16
; WaveLimiterHint : 1
; COMPUTE_PGM_RSRC2:SCRATCH_EN: 0
; COMPUTE_PGM_RSRC2:USER_SGPR: 15
; COMPUTE_PGM_RSRC2:TRAP_HANDLER: 0
; COMPUTE_PGM_RSRC2:TGID_X_EN: 1
; COMPUTE_PGM_RSRC2:TGID_Y_EN: 0
; COMPUTE_PGM_RSRC2:TGID_Z_EN: 0
; COMPUTE_PGM_RSRC2:TIDIG_COMP_CNT: 0
	.text
	.p2alignl 7, 3214868480
	.fill 96, 4, 3214868480
	.type	__hip_cuid_6ea93b48c3fb7043,@object ; @__hip_cuid_6ea93b48c3fb7043
	.section	.bss,"aw",@nobits
	.globl	__hip_cuid_6ea93b48c3fb7043
__hip_cuid_6ea93b48c3fb7043:
	.byte	0                               ; 0x0
	.size	__hip_cuid_6ea93b48c3fb7043, 1

	.ident	"AMD clang version 19.0.0git (https://github.com/RadeonOpenCompute/llvm-project roc-6.4.0 25133 c7fe45cf4b819c5991fe208aaa96edf142730f1d)"
	.section	".note.GNU-stack","",@progbits
	.addrsig
	.addrsig_sym __hip_cuid_6ea93b48c3fb7043
	.amdgpu_metadata
---
amdhsa.kernels:
  - .args:
      - .actual_access:  read_only
        .address_space:  global
        .offset:         0
        .size:           8
        .value_kind:     global_buffer
      - .actual_access:  write_only
        .address_space:  global
        .offset:         8
        .size:           8
        .value_kind:     global_buffer
      - .actual_access:  read_only
        .address_space:  global
        .offset:         16
        .size:           8
        .value_kind:     global_buffer
    .group_segment_fixed_size: 0
    .kernarg_segment_align: 8
    .kernarg_segment_size: 24
    .language:       OpenCL C
    .language_version:
      - 2
      - 0
    .max_flat_workgroup_size: 1024
    .name:           _Z10ker_KeccakPKjPjS0_
    .private_segment_fixed_size: 0
    .sgpr_count:     18
    .sgpr_spill_count: 0
    .symbol:         _Z10ker_KeccakPKjPjS0_.kd
    .uniform_work_group_size: 1
    .uses_dynamic_stack: false
    .vgpr_count:     45
    .vgpr_spill_count: 0
    .wavefront_size: 32
    .workgroup_processor_mode: 1
amdhsa.target:   amdgcn-amd-amdhsa--gfx1100
amdhsa.version:
  - 1
  - 2
...

	.end_amdgpu_metadata
